;; amdgpu-corpus repo=ROCm/rocFFT kind=compiled arch=gfx1030 opt=O3
	.text
	.amdgcn_target "amdgcn-amd-amdhsa--gfx1030"
	.amdhsa_code_object_version 6
	.protected	fft_rtc_back_len550_factors_11_10_5_wgs_55_tpt_55_dp_op_CI_CI_unitstride_sbrr_C2R_dirReg ; -- Begin function fft_rtc_back_len550_factors_11_10_5_wgs_55_tpt_55_dp_op_CI_CI_unitstride_sbrr_C2R_dirReg
	.globl	fft_rtc_back_len550_factors_11_10_5_wgs_55_tpt_55_dp_op_CI_CI_unitstride_sbrr_C2R_dirReg
	.p2align	8
	.type	fft_rtc_back_len550_factors_11_10_5_wgs_55_tpt_55_dp_op_CI_CI_unitstride_sbrr_C2R_dirReg,@function
fft_rtc_back_len550_factors_11_10_5_wgs_55_tpt_55_dp_op_CI_CI_unitstride_sbrr_C2R_dirReg: ; @fft_rtc_back_len550_factors_11_10_5_wgs_55_tpt_55_dp_op_CI_CI_unitstride_sbrr_C2R_dirReg
; %bb.0:
	s_clause 0x2
	s_load_dwordx4 s[12:15], s[4:5], 0x0
	s_load_dwordx4 s[8:11], s[4:5], 0x58
	;; [unrolled: 1-line block ×3, first 2 shown]
	v_mul_u32_u24_e32 v1, 0x4a8, v0
	v_mov_b32_e32 v3, 0
	v_add_nc_u32_sdwa v5, s6, v1 dst_sel:DWORD dst_unused:UNUSED_PAD src0_sel:DWORD src1_sel:WORD_1
	v_mov_b32_e32 v1, 0
	v_mov_b32_e32 v6, v3
	v_mov_b32_e32 v2, 0
	s_waitcnt lgkmcnt(0)
	v_cmp_lt_u64_e64 s0, s[14:15], 2
	s_and_b32 vcc_lo, exec_lo, s0
	s_cbranch_vccnz .LBB0_8
; %bb.1:
	s_load_dwordx2 s[0:1], s[4:5], 0x10
	v_mov_b32_e32 v1, 0
	v_mov_b32_e32 v2, 0
	s_add_u32 s2, s18, 8
	s_addc_u32 s3, s19, 0
	s_add_u32 s6, s16, 8
	s_addc_u32 s7, s17, 0
	v_mov_b32_e32 v45, v2
	v_mov_b32_e32 v44, v1
	s_mov_b64 s[22:23], 1
	s_waitcnt lgkmcnt(0)
	s_add_u32 s20, s0, 8
	s_addc_u32 s21, s1, 0
.LBB0_2:                                ; =>This Inner Loop Header: Depth=1
	s_load_dwordx2 s[24:25], s[20:21], 0x0
                                        ; implicit-def: $vgpr46_vgpr47
	s_mov_b32 s0, exec_lo
	s_waitcnt lgkmcnt(0)
	v_or_b32_e32 v4, s25, v6
	v_cmpx_ne_u64_e32 0, v[3:4]
	s_xor_b32 s1, exec_lo, s0
	s_cbranch_execz .LBB0_4
; %bb.3:                                ;   in Loop: Header=BB0_2 Depth=1
	v_cvt_f32_u32_e32 v4, s24
	v_cvt_f32_u32_e32 v7, s25
	s_sub_u32 s0, 0, s24
	s_subb_u32 s26, 0, s25
	v_fmac_f32_e32 v4, 0x4f800000, v7
	v_rcp_f32_e32 v4, v4
	v_mul_f32_e32 v4, 0x5f7ffffc, v4
	v_mul_f32_e32 v7, 0x2f800000, v4
	v_trunc_f32_e32 v7, v7
	v_fmac_f32_e32 v4, 0xcf800000, v7
	v_cvt_u32_f32_e32 v7, v7
	v_cvt_u32_f32_e32 v4, v4
	v_mul_lo_u32 v8, s0, v7
	v_mul_hi_u32 v9, s0, v4
	v_mul_lo_u32 v10, s26, v4
	v_add_nc_u32_e32 v8, v9, v8
	v_mul_lo_u32 v9, s0, v4
	v_add_nc_u32_e32 v8, v8, v10
	v_mul_hi_u32 v10, v4, v9
	v_mul_lo_u32 v11, v4, v8
	v_mul_hi_u32 v12, v4, v8
	v_mul_hi_u32 v13, v7, v9
	v_mul_lo_u32 v9, v7, v9
	v_mul_hi_u32 v14, v7, v8
	v_mul_lo_u32 v8, v7, v8
	v_add_co_u32 v10, vcc_lo, v10, v11
	v_add_co_ci_u32_e32 v11, vcc_lo, 0, v12, vcc_lo
	v_add_co_u32 v9, vcc_lo, v10, v9
	v_add_co_ci_u32_e32 v9, vcc_lo, v11, v13, vcc_lo
	v_add_co_ci_u32_e32 v10, vcc_lo, 0, v14, vcc_lo
	v_add_co_u32 v8, vcc_lo, v9, v8
	v_add_co_ci_u32_e32 v9, vcc_lo, 0, v10, vcc_lo
	v_add_co_u32 v4, vcc_lo, v4, v8
	v_add_co_ci_u32_e32 v7, vcc_lo, v7, v9, vcc_lo
	v_mul_hi_u32 v8, s0, v4
	v_mul_lo_u32 v10, s26, v4
	v_mul_lo_u32 v9, s0, v7
	v_add_nc_u32_e32 v8, v8, v9
	v_mul_lo_u32 v9, s0, v4
	v_add_nc_u32_e32 v8, v8, v10
	v_mul_hi_u32 v10, v4, v9
	v_mul_lo_u32 v11, v4, v8
	v_mul_hi_u32 v12, v4, v8
	v_mul_hi_u32 v13, v7, v9
	v_mul_lo_u32 v9, v7, v9
	v_mul_hi_u32 v14, v7, v8
	v_mul_lo_u32 v8, v7, v8
	v_add_co_u32 v10, vcc_lo, v10, v11
	v_add_co_ci_u32_e32 v11, vcc_lo, 0, v12, vcc_lo
	v_add_co_u32 v9, vcc_lo, v10, v9
	v_add_co_ci_u32_e32 v9, vcc_lo, v11, v13, vcc_lo
	v_add_co_ci_u32_e32 v10, vcc_lo, 0, v14, vcc_lo
	v_add_co_u32 v8, vcc_lo, v9, v8
	v_add_co_ci_u32_e32 v9, vcc_lo, 0, v10, vcc_lo
	v_add_co_u32 v4, vcc_lo, v4, v8
	v_add_co_ci_u32_e32 v11, vcc_lo, v7, v9, vcc_lo
	v_mul_hi_u32 v13, v5, v4
	v_mad_u64_u32 v[9:10], null, v6, v4, 0
	v_mad_u64_u32 v[7:8], null, v5, v11, 0
	;; [unrolled: 1-line block ×3, first 2 shown]
	v_add_co_u32 v4, vcc_lo, v13, v7
	v_add_co_ci_u32_e32 v7, vcc_lo, 0, v8, vcc_lo
	v_add_co_u32 v4, vcc_lo, v4, v9
	v_add_co_ci_u32_e32 v4, vcc_lo, v7, v10, vcc_lo
	v_add_co_ci_u32_e32 v7, vcc_lo, 0, v12, vcc_lo
	v_add_co_u32 v4, vcc_lo, v4, v11
	v_add_co_ci_u32_e32 v9, vcc_lo, 0, v7, vcc_lo
	v_mul_lo_u32 v10, s25, v4
	v_mad_u64_u32 v[7:8], null, s24, v4, 0
	v_mul_lo_u32 v11, s24, v9
	v_sub_co_u32 v7, vcc_lo, v5, v7
	v_add3_u32 v8, v8, v11, v10
	v_sub_nc_u32_e32 v10, v6, v8
	v_subrev_co_ci_u32_e64 v10, s0, s25, v10, vcc_lo
	v_add_co_u32 v11, s0, v4, 2
	v_add_co_ci_u32_e64 v12, s0, 0, v9, s0
	v_sub_co_u32 v13, s0, v7, s24
	v_sub_co_ci_u32_e32 v8, vcc_lo, v6, v8, vcc_lo
	v_subrev_co_ci_u32_e64 v10, s0, 0, v10, s0
	v_cmp_le_u32_e32 vcc_lo, s24, v13
	v_cmp_eq_u32_e64 s0, s25, v8
	v_cndmask_b32_e64 v13, 0, -1, vcc_lo
	v_cmp_le_u32_e32 vcc_lo, s25, v10
	v_cndmask_b32_e64 v14, 0, -1, vcc_lo
	v_cmp_le_u32_e32 vcc_lo, s24, v7
	;; [unrolled: 2-line block ×3, first 2 shown]
	v_cndmask_b32_e64 v15, 0, -1, vcc_lo
	v_cmp_eq_u32_e32 vcc_lo, s25, v10
	v_cndmask_b32_e64 v7, v15, v7, s0
	v_cndmask_b32_e32 v10, v14, v13, vcc_lo
	v_add_co_u32 v13, vcc_lo, v4, 1
	v_add_co_ci_u32_e32 v14, vcc_lo, 0, v9, vcc_lo
	v_cmp_ne_u32_e32 vcc_lo, 0, v10
	v_cndmask_b32_e32 v8, v14, v12, vcc_lo
	v_cndmask_b32_e32 v10, v13, v11, vcc_lo
	v_cmp_ne_u32_e32 vcc_lo, 0, v7
	v_cndmask_b32_e32 v47, v9, v8, vcc_lo
	v_cndmask_b32_e32 v46, v4, v10, vcc_lo
.LBB0_4:                                ;   in Loop: Header=BB0_2 Depth=1
	s_andn2_saveexec_b32 s0, s1
	s_cbranch_execz .LBB0_6
; %bb.5:                                ;   in Loop: Header=BB0_2 Depth=1
	v_cvt_f32_u32_e32 v4, s24
	s_sub_i32 s1, 0, s24
	v_mov_b32_e32 v47, v3
	v_rcp_iflag_f32_e32 v4, v4
	v_mul_f32_e32 v4, 0x4f7ffffe, v4
	v_cvt_u32_f32_e32 v4, v4
	v_mul_lo_u32 v7, s1, v4
	v_mul_hi_u32 v7, v4, v7
	v_add_nc_u32_e32 v4, v4, v7
	v_mul_hi_u32 v4, v5, v4
	v_mul_lo_u32 v7, v4, s24
	v_add_nc_u32_e32 v8, 1, v4
	v_sub_nc_u32_e32 v7, v5, v7
	v_subrev_nc_u32_e32 v9, s24, v7
	v_cmp_le_u32_e32 vcc_lo, s24, v7
	v_cndmask_b32_e32 v7, v7, v9, vcc_lo
	v_cndmask_b32_e32 v4, v4, v8, vcc_lo
	v_cmp_le_u32_e32 vcc_lo, s24, v7
	v_add_nc_u32_e32 v8, 1, v4
	v_cndmask_b32_e32 v46, v4, v8, vcc_lo
.LBB0_6:                                ;   in Loop: Header=BB0_2 Depth=1
	s_or_b32 exec_lo, exec_lo, s0
	v_mul_lo_u32 v4, v47, s24
	v_mul_lo_u32 v9, v46, s25
	s_load_dwordx2 s[0:1], s[6:7], 0x0
	v_mad_u64_u32 v[7:8], null, v46, s24, 0
	s_load_dwordx2 s[24:25], s[2:3], 0x0
	s_add_u32 s22, s22, 1
	s_addc_u32 s23, s23, 0
	s_add_u32 s2, s2, 8
	s_addc_u32 s3, s3, 0
	s_add_u32 s6, s6, 8
	v_add3_u32 v4, v8, v9, v4
	v_sub_co_u32 v5, vcc_lo, v5, v7
	s_addc_u32 s7, s7, 0
	s_add_u32 s20, s20, 8
	v_sub_co_ci_u32_e32 v4, vcc_lo, v6, v4, vcc_lo
	s_addc_u32 s21, s21, 0
	s_waitcnt lgkmcnt(0)
	v_mul_lo_u32 v6, s0, v4
	v_mul_lo_u32 v7, s1, v5
	v_mad_u64_u32 v[1:2], null, s0, v5, v[1:2]
	v_mul_lo_u32 v4, s24, v4
	v_mul_lo_u32 v8, s25, v5
	v_mad_u64_u32 v[44:45], null, s24, v5, v[44:45]
	v_cmp_ge_u64_e64 s0, s[22:23], s[14:15]
	v_add3_u32 v2, v7, v2, v6
	v_add3_u32 v45, v8, v45, v4
	s_and_b32 vcc_lo, exec_lo, s0
	s_cbranch_vccnz .LBB0_9
; %bb.7:                                ;   in Loop: Header=BB0_2 Depth=1
	v_mov_b32_e32 v5, v46
	v_mov_b32_e32 v6, v47
	s_branch .LBB0_2
.LBB0_8:
	v_mov_b32_e32 v45, v2
	v_mov_b32_e32 v47, v6
	;; [unrolled: 1-line block ×4, first 2 shown]
.LBB0_9:
	s_load_dwordx2 s[0:1], s[4:5], 0x28
	v_mul_hi_u32 v3, 0x4a7904b, v0
	s_lshl_b64 s[4:5], s[14:15], 3
                                        ; implicit-def: $vgpr48
	s_add_u32 s2, s18, s4
	s_addc_u32 s3, s19, s5
	s_waitcnt lgkmcnt(0)
	v_cmp_gt_u64_e32 vcc_lo, s[0:1], v[46:47]
	v_cmp_le_u64_e64 s0, s[0:1], v[46:47]
	s_and_saveexec_b32 s1, s0
	s_xor_b32 s0, exec_lo, s1
; %bb.10:
	v_mul_u32_u24_e32 v1, 55, v3
                                        ; implicit-def: $vgpr3
	v_sub_nc_u32_e32 v48, v0, v1
                                        ; implicit-def: $vgpr0
                                        ; implicit-def: $vgpr1_vgpr2
; %bb.11:
	s_or_saveexec_b32 s1, s0
	s_load_dwordx2 s[2:3], s[2:3], 0x0
	s_xor_b32 exec_lo, exec_lo, s1
	s_cbranch_execz .LBB0_15
; %bb.12:
	s_add_u32 s4, s16, s4
	s_addc_u32 s5, s17, s5
	v_lshlrev_b64 v[1:2], 4, v[1:2]
	s_load_dwordx2 s[4:5], s[4:5], 0x0
	s_waitcnt lgkmcnt(0)
	v_mul_lo_u32 v6, s5, v46
	v_mul_lo_u32 v7, s4, v47
	v_mad_u64_u32 v[4:5], null, s4, v46, 0
	s_mov_b32 s4, exec_lo
	v_add3_u32 v5, v5, v7, v6
	v_mul_u32_u24_e32 v6, 55, v3
	v_lshlrev_b64 v[3:4], 4, v[4:5]
	v_sub_nc_u32_e32 v48, v0, v6
	v_lshlrev_b32_e32 v42, 4, v48
	v_add_co_u32 v0, s0, s8, v3
	v_add_co_ci_u32_e64 v3, s0, s9, v4, s0
	v_add_co_u32 v0, s0, v0, v1
	v_add_co_ci_u32_e64 v1, s0, v3, v2, s0
	;; [unrolled: 2-line block ×3, first 2 shown]
	s_clause 0x1
	global_load_dwordx4 v[2:5], v[10:11], off
	global_load_dwordx4 v[6:9], v[10:11], off offset:880
	v_add_co_u32 v18, s0, 0x800, v10
	v_add_co_ci_u32_e64 v19, s0, 0, v11, s0
	v_add_co_u32 v26, s0, 0x1000, v10
	v_add_co_ci_u32_e64 v27, s0, 0, v11, s0
	;; [unrolled: 2-line block ×3, first 2 shown]
	s_clause 0x7
	global_load_dwordx4 v[10:13], v[10:11], off offset:1760
	global_load_dwordx4 v[14:17], v[18:19], off offset:592
	;; [unrolled: 1-line block ×8, first 2 shown]
	v_add_nc_u32_e32 v42, 0, v42
	s_waitcnt vmcnt(9)
	ds_write_b128 v42, v[2:5]
	s_waitcnt vmcnt(8)
	ds_write_b128 v42, v[6:9] offset:880
	s_waitcnt vmcnt(7)
	ds_write_b128 v42, v[10:13] offset:1760
	;; [unrolled: 2-line block ×9, first 2 shown]
	v_cmpx_eq_u32_e32 54, v48
	s_cbranch_execz .LBB0_14
; %bb.13:
	v_add_co_u32 v0, s0, 0x2000, v0
	v_add_co_ci_u32_e64 v1, s0, 0, v1, s0
	v_mov_b32_e32 v4, 0
	v_mov_b32_e32 v48, 54
	global_load_dwordx4 v[0:3], v[0:1], off offset:608
	s_waitcnt vmcnt(0)
	ds_write_b128 v4, v[0:3] offset:8800
.LBB0_14:
	s_or_b32 exec_lo, exec_lo, s4
.LBB0_15:
	s_or_b32 exec_lo, exec_lo, s1
	v_lshlrev_b32_e32 v0, 4, v48
	s_waitcnt lgkmcnt(0)
	s_barrier
	buffer_gl0_inv
	s_add_u32 s1, s12, 0x21b0
	v_add_nc_u32_e32 v65, 0, v0
	v_sub_nc_u32_e32 v6, 0, v0
	s_addc_u32 s4, s13, 0
	s_mov_b32 s5, exec_lo
	ds_read_b64 v[2:3], v65
	ds_read_b64 v[4:5], v6 offset:8800
	s_waitcnt lgkmcnt(0)
	v_add_f64 v[0:1], v[2:3], v[4:5]
	v_add_f64 v[2:3], v[2:3], -v[4:5]
                                        ; implicit-def: $vgpr4_vgpr5
	v_cmpx_ne_u32_e32 0, v48
	s_xor_b32 s5, exec_lo, s5
	s_cbranch_execz .LBB0_17
; %bb.16:
	v_mov_b32_e32 v49, 0
	v_lshlrev_b64 v[4:5], 4, v[48:49]
	v_add_co_u32 v4, s0, s1, v4
	v_add_co_ci_u32_e64 v5, s0, s4, v5, s0
	global_load_dwordx4 v[7:10], v[4:5], off
	ds_read_b64 v[4:5], v6 offset:8808
	ds_read_b64 v[11:12], v65 offset:8
	s_waitcnt lgkmcnt(0)
	v_add_f64 v[13:14], v[4:5], v[11:12]
	v_add_f64 v[4:5], v[11:12], -v[4:5]
	s_waitcnt vmcnt(0)
	v_fma_f64 v[11:12], v[2:3], v[9:10], v[0:1]
	v_fma_f64 v[15:16], v[13:14], v[9:10], v[4:5]
	v_fma_f64 v[0:1], -v[2:3], v[9:10], v[0:1]
	v_fma_f64 v[4:5], v[13:14], v[9:10], -v[4:5]
	v_fma_f64 v[9:10], -v[13:14], v[7:8], v[11:12]
	v_fma_f64 v[11:12], v[2:3], v[7:8], v[15:16]
	v_fma_f64 v[0:1], v[13:14], v[7:8], v[0:1]
	v_fma_f64 v[2:3], v[2:3], v[7:8], v[4:5]
	v_mov_b32_e32 v4, v48
	v_mov_b32_e32 v5, v49
	ds_write_b128 v65, v[9:12]
	ds_write_b128 v6, v[0:3] offset:8800
                                        ; implicit-def: $vgpr0_vgpr1
.LBB0_17:
	s_andn2_saveexec_b32 s0, s5
	s_cbranch_execz .LBB0_19
; %bb.18:
	v_mov_b32_e32 v7, 0
	ds_write_b128 v65, v[0:3]
	v_mov_b32_e32 v4, 0
	v_mov_b32_e32 v5, 0
	ds_read_b128 v[0:3], v7 offset:4400
	s_waitcnt lgkmcnt(0)
	v_add_f64 v[0:1], v[0:1], v[0:1]
	v_mul_f64 v[2:3], v[2:3], -2.0
	ds_write_b128 v7, v[0:3] offset:4400
.LBB0_19:
	s_or_b32 exec_lo, exec_lo, s0
	v_lshlrev_b64 v[0:1], 4, v[4:5]
	s_mov_b32 s33, exec_lo
	v_add_co_u32 v4, s0, s1, v0
	v_add_co_ci_u32_e64 v5, s0, s4, v1, s0
	s_clause 0x1
	global_load_dwordx4 v[0:3], v[4:5], off offset:880
	global_load_dwordx4 v[7:10], v[4:5], off offset:1760
	v_add_co_u32 v4, s0, 0x800, v4
	v_add_co_ci_u32_e64 v5, s0, 0, v5, s0
	global_load_dwordx4 v[11:14], v[4:5], off offset:592
	ds_read_b128 v[15:18], v65 offset:880
	ds_read_b128 v[19:22], v6 offset:7920
	global_load_dwordx4 v[23:26], v[4:5], off offset:1472
	s_waitcnt lgkmcnt(0)
	v_add_f64 v[4:5], v[15:16], v[19:20]
	v_add_f64 v[27:28], v[21:22], v[17:18]
	v_add_f64 v[19:20], v[15:16], -v[19:20]
	v_add_f64 v[15:16], v[17:18], -v[21:22]
	s_waitcnt vmcnt(3)
	v_fma_f64 v[17:18], v[19:20], v[2:3], v[4:5]
	v_fma_f64 v[21:22], v[27:28], v[2:3], v[15:16]
	v_fma_f64 v[29:30], -v[19:20], v[2:3], v[4:5]
	v_fma_f64 v[31:32], v[27:28], v[2:3], -v[15:16]
	v_fma_f64 v[2:3], -v[27:28], v[0:1], v[17:18]
	v_fma_f64 v[4:5], v[19:20], v[0:1], v[21:22]
	v_fma_f64 v[15:16], v[27:28], v[0:1], v[29:30]
	v_fma_f64 v[17:18], v[19:20], v[0:1], v[31:32]
	ds_write_b128 v65, v[2:5] offset:880
	ds_write_b128 v6, v[15:18] offset:7920
	ds_read_b128 v[0:3], v65 offset:1760
	ds_read_b128 v[15:18], v6 offset:7040
	s_waitcnt lgkmcnt(0)
	v_add_f64 v[4:5], v[0:1], v[15:16]
	v_add_f64 v[19:20], v[17:18], v[2:3]
	v_add_f64 v[21:22], v[0:1], -v[15:16]
	v_add_f64 v[0:1], v[2:3], -v[17:18]
	s_waitcnt vmcnt(2)
	v_fma_f64 v[2:3], v[21:22], v[9:10], v[4:5]
	v_fma_f64 v[15:16], v[19:20], v[9:10], v[0:1]
	v_fma_f64 v[4:5], -v[21:22], v[9:10], v[4:5]
	v_fma_f64 v[9:10], v[19:20], v[9:10], -v[0:1]
	v_fma_f64 v[0:1], -v[19:20], v[7:8], v[2:3]
	v_fma_f64 v[2:3], v[21:22], v[7:8], v[15:16]
	v_fma_f64 v[15:16], v[19:20], v[7:8], v[4:5]
	v_fma_f64 v[17:18], v[21:22], v[7:8], v[9:10]
	ds_write_b128 v65, v[0:3] offset:1760
	ds_write_b128 v6, v[15:18] offset:7040
	ds_read_b128 v[0:3], v65 offset:2640
	ds_read_b128 v[7:10], v6 offset:6160
	;; [unrolled: 18-line block ×3, first 2 shown]
	s_waitcnt lgkmcnt(0)
	v_add_f64 v[4:5], v[0:1], v[7:8]
	v_add_f64 v[11:12], v[9:10], v[2:3]
	v_add_f64 v[13:14], v[0:1], -v[7:8]
	v_add_f64 v[0:1], v[2:3], -v[9:10]
	s_waitcnt vmcnt(0)
	v_fma_f64 v[2:3], v[13:14], v[25:26], v[4:5]
	v_fma_f64 v[7:8], v[11:12], v[25:26], v[0:1]
	v_fma_f64 v[4:5], -v[13:14], v[25:26], v[4:5]
	v_fma_f64 v[9:10], v[11:12], v[25:26], -v[0:1]
	v_fma_f64 v[0:1], -v[11:12], v[23:24], v[2:3]
	v_fma_f64 v[2:3], v[13:14], v[23:24], v[7:8]
	v_fma_f64 v[7:8], v[11:12], v[23:24], v[4:5]
	;; [unrolled: 1-line block ×3, first 2 shown]
	ds_write_b128 v65, v[0:3] offset:3520
	ds_write_b128 v6, v[7:10] offset:5280
	s_waitcnt lgkmcnt(0)
	s_barrier
	buffer_gl0_inv
	s_barrier
	buffer_gl0_inv
	ds_read_b128 v[4:7], v65
	ds_read_b128 v[28:31], v65 offset:800
	ds_read_b128 v[32:35], v65 offset:1600
	ds_read_b128 v[36:39], v65 offset:2400
	ds_read_b128 v[40:43], v65 offset:3200
	ds_read_b128 v[24:27], v65 offset:4000
	ds_read_b128 v[20:23], v65 offset:4800
	ds_read_b128 v[16:19], v65 offset:5600
	ds_read_b128 v[12:15], v65 offset:6400
	ds_read_b128 v[8:11], v65 offset:7200
	ds_read_b128 v[0:3], v65 offset:8000
	s_waitcnt lgkmcnt(0)
	s_barrier
	buffer_gl0_inv
	v_cmpx_gt_u32_e32 50, v48
	s_cbranch_execz .LBB0_21
; %bb.20:
	v_add_f64 v[49:50], v[6:7], v[30:31]
	v_add_f64 v[51:52], v[4:5], v[28:29]
	v_add_f64 v[70:71], v[28:29], -v[0:1]
	v_add_f64 v[72:73], v[30:31], -v[2:3]
	v_add_f64 v[59:60], v[42:43], v[18:19]
	v_add_f64 v[63:64], v[42:43], -v[18:19]
	s_mov_b32 s8, 0xfd768dbf
	s_mov_b32 s9, 0xbfd207e7
	v_add_f64 v[53:54], v[24:25], -v[20:21]
	v_add_f64 v[55:56], v[26:27], -v[22:23]
	;; [unrolled: 1-line block ×3, first 2 shown]
	v_add_f64 v[57:58], v[40:41], v[16:17]
	v_add_f64 v[74:75], v[38:39], -v[14:15]
	v_add_f64 v[76:77], v[32:33], -v[8:9]
	v_add_f64 v[30:31], v[30:31], v[2:3]
	v_add_f64 v[28:29], v[28:29], v[0:1]
	s_mov_b32 s14, 0xf8bb580b
	s_mov_b32 s0, 0x9bcd5057
	;; [unrolled: 1-line block ×6, first 2 shown]
	v_add_f64 v[49:50], v[49:50], v[34:35]
	v_add_f64 v[51:52], v[51:52], v[32:33]
	;; [unrolled: 1-line block ×3, first 2 shown]
	v_mul_f64 v[86:87], v[72:73], s[16:17]
	s_mov_b32 s21, 0x3fed1bb4
	s_mov_b32 s20, 0x8eee2c13
	;; [unrolled: 1-line block ×9, first 2 shown]
	v_mul_f64 v[78:79], v[76:77], s[14:15]
	s_mov_b32 s29, 0x3fefac9e
	s_mov_b32 s22, s14
	;; [unrolled: 1-line block ×3, first 2 shown]
	v_mul_f64 v[82:83], v[63:64], s[20:21]
	v_mul_f64 v[84:85], v[53:54], s[20:21]
	;; [unrolled: 1-line block ×5, first 2 shown]
	v_add_f64 v[66:67], v[49:50], v[38:39]
	v_add_f64 v[68:69], v[51:52], v[36:37]
	;; [unrolled: 1-line block ×4, first 2 shown]
	v_mul_f64 v[98:99], v[70:71], s[22:23]
	v_mul_f64 v[100:101], v[76:77], s[28:29]
	;; [unrolled: 1-line block ×3, first 2 shown]
	v_fma_f64 v[114:115], v[28:29], s[6:7], -v[86:87]
	v_fma_f64 v[86:87], v[28:29], s[6:7], v[86:87]
	s_mov_b32 s24, 0xd9c712b6
	s_mov_b32 s26, 0x640f44db
	;; [unrolled: 1-line block ×6, first 2 shown]
	v_mul_f64 v[106:107], v[76:77], s[30:31]
	v_fma_f64 v[118:119], v[30:31], s[26:27], -v[90:91]
	v_add_f64 v[42:43], v[66:67], v[42:43]
	v_add_f64 v[66:67], v[68:69], v[40:41]
	;; [unrolled: 1-line block ×4, first 2 shown]
	v_add_f64 v[34:35], v[34:35], -v[10:11]
	v_add_f64 v[68:69], v[36:37], -v[12:13]
	v_add_f64 v[36:37], v[36:37], v[12:13]
	v_fma_f64 v[90:91], v[30:31], s[26:27], v[90:91]
	v_fma_f64 v[120:121], v[30:31], s[4:5], v[98:99]
	v_fma_f64 v[98:99], v[30:31], s[4:5], -v[98:99]
	v_fma_f64 v[124:125], v[28:29], s[26:27], v[108:109]
	v_add_f64 v[86:87], v[4:5], v[86:87]
	v_add_f64 v[118:119], v[6:7], v[118:119]
	;; [unrolled: 1-line block ×4, first 2 shown]
	v_mul_f64 v[42:43], v[70:71], s[8:9]
	v_mul_f64 v[66:67], v[72:73], s[8:9]
	;; [unrolled: 1-line block ×5, first 2 shown]
	v_fma_f64 v[112:113], v[38:39], s[4:5], v[78:79]
	v_mul_f64 v[110:111], v[34:35], s[30:31]
	v_fma_f64 v[78:79], v[38:39], s[4:5], -v[78:79]
	v_fma_f64 v[122:123], v[38:39], s[26:27], v[100:101]
	v_fma_f64 v[100:101], v[38:39], s[26:27], -v[100:101]
	v_add_f64 v[124:125], v[4:5], v[124:125]
	v_add_f64 v[90:91], v[6:7], v[90:91]
	v_add_f64 v[22:23], v[26:27], v[22:23]
	v_add_f64 v[20:21], v[24:25], v[20:21]
	v_mul_f64 v[26:27], v[70:71], s[16:17]
	v_fma_f64 v[92:93], v[30:31], s[0:1], v[42:43]
	v_fma_f64 v[102:103], v[28:29], s[0:1], -v[66:67]
	v_mul_f64 v[24:25], v[61:62], s[20:21]
	s_mov_b32 s21, 0xbfed1bb4
	v_fma_f64 v[42:43], v[30:31], s[0:1], -v[42:43]
	v_fma_f64 v[66:67], v[28:29], s[0:1], v[66:67]
	v_mul_f64 v[70:71], v[70:71], s[20:21]
	v_fma_f64 v[116:117], v[32:33], s[4:5], -v[80:81]
	v_fma_f64 v[80:81], v[32:33], s[4:5], v[80:81]
	v_add_f64 v[18:19], v[22:23], v[18:19]
	v_add_f64 v[16:17], v[20:21], v[16:17]
	v_fma_f64 v[22:23], v[30:31], s[6:7], v[26:27]
	v_fma_f64 v[26:27], v[30:31], s[6:7], -v[26:27]
	v_add_f64 v[92:93], v[6:7], v[92:93]
	v_add_f64 v[102:103], v[4:5], v[102:103]
	v_mul_f64 v[20:21], v[68:69], s[16:17]
	v_add_f64 v[42:43], v[6:7], v[42:43]
	v_add_f64 v[66:67], v[4:5], v[66:67]
	;; [unrolled: 1-line block ×4, first 2 shown]
	v_fma_f64 v[16:17], v[32:33], s[26:27], -v[104:105]
	v_add_f64 v[18:19], v[6:7], v[22:23]
	v_fma_f64 v[22:23], v[30:31], s[24:25], -v[70:71]
	v_fma_f64 v[30:31], v[30:31], s[24:25], v[70:71]
	v_add_f64 v[70:71], v[4:5], v[114:115]
	v_mul_f64 v[114:115], v[74:75], s[16:17]
	v_add_f64 v[92:93], v[112:113], v[92:93]
	v_mul_f64 v[112:113], v[68:69], s[22:23]
	v_add_f64 v[26:27], v[6:7], v[26:27]
	v_fma_f64 v[104:105], v[32:33], s[26:27], v[104:105]
	v_add_f64 v[102:103], v[116:117], v[102:103]
	v_mul_f64 v[116:117], v[74:75], s[22:23]
	v_add_f64 v[42:43], v[78:79], v[42:43]
	v_fma_f64 v[78:79], v[38:39], s[0:1], -v[106:107]
	v_add_f64 v[66:67], v[80:81], v[66:67]
	v_fma_f64 v[80:81], v[32:33], s[0:1], v[110:111]
	v_fma_f64 v[106:107], v[38:39], s[0:1], v[106:107]
	v_fma_f64 v[110:111], v[32:33], s[0:1], -v[110:111]
	v_add_f64 v[10:11], v[14:15], v[10:11]
	v_add_f64 v[8:9], v[12:13], v[8:9]
	v_fma_f64 v[14:15], v[28:29], s[26:27], -v[108:109]
	v_add_f64 v[18:19], v[122:123], v[18:19]
	v_fma_f64 v[122:123], v[40:41], s[6:7], v[20:21]
	v_fma_f64 v[20:21], v[40:41], s[6:7], -v[20:21]
	v_add_f64 v[16:17], v[16:17], v[70:71]
	v_fma_f64 v[70:71], v[36:37], s[6:7], -v[114:115]
	v_fma_f64 v[114:115], v[36:37], s[6:7], v[114:115]
	v_add_f64 v[22:23], v[6:7], v[22:23]
	v_add_f64 v[26:27], v[100:101], v[26:27]
	v_fma_f64 v[100:101], v[40:41], s[4:5], v[112:113]
	v_add_f64 v[86:87], v[104:105], v[86:87]
	v_fma_f64 v[104:105], v[36:37], s[4:5], -v[116:117]
	v_fma_f64 v[112:113], v[40:41], s[4:5], -v[112:113]
	v_add_f64 v[78:79], v[78:79], v[118:119]
	v_mul_f64 v[118:119], v[61:62], s[8:9]
	v_add_f64 v[80:81], v[80:81], v[124:125]
	v_mul_f64 v[124:125], v[63:64], s[8:9]
	v_fma_f64 v[116:117], v[36:37], s[4:5], v[116:117]
	v_mul_f64 v[108:109], v[61:62], s[28:29]
	v_add_f64 v[30:31], v[6:7], v[30:31]
	v_add_f64 v[90:91], v[106:107], v[90:91]
	;; [unrolled: 1-line block ×6, first 2 shown]
	v_mul_f64 v[122:123], v[72:73], s[20:21]
	v_add_f64 v[20:21], v[20:21], v[42:43]
	v_add_f64 v[70:71], v[70:71], v[102:103]
	v_fma_f64 v[102:103], v[40:41], s[24:25], -v[94:95]
	v_fma_f64 v[42:43], v[36:37], s[24:25], v[96:97]
	v_add_f64 v[66:67], v[114:115], v[66:67]
	v_fma_f64 v[114:115], v[59:60], s[24:25], v[24:25]
	v_add_f64 v[18:19], v[100:101], v[18:19]
	v_fma_f64 v[100:101], v[57:58], s[24:25], -v[82:83]
	v_mul_f64 v[72:73], v[72:73], s[22:23]
	v_add_f64 v[16:17], v[104:105], v[16:17]
	v_mul_f64 v[104:105], v[76:77], s[16:17]
	v_fma_f64 v[24:25], v[59:60], s[24:25], -v[24:25]
	v_fma_f64 v[82:83], v[57:58], s[24:25], v[82:83]
	v_add_f64 v[26:27], v[112:113], v[26:27]
	v_add_f64 v[86:87], v[116:117], v[86:87]
	v_fma_f64 v[112:113], v[59:60], s[0:1], v[118:119]
	v_fma_f64 v[116:117], v[57:58], s[0:1], -v[124:125]
	v_fma_f64 v[118:119], v[59:60], s[0:1], -v[118:119]
	v_mul_f64 v[76:77], v[76:77], s[20:21]
	v_add_f64 v[14:15], v[110:111], v[14:15]
	v_fma_f64 v[96:97], v[36:37], s[24:25], -v[96:97]
	v_fma_f64 v[124:125], v[57:58], s[0:1], v[124:125]
	v_add_f64 v[78:79], v[102:103], v[78:79]
	v_add_f64 v[42:43], v[42:43], v[80:81]
	;; [unrolled: 1-line block ×3, first 2 shown]
	v_fma_f64 v[92:93], v[28:29], s[24:25], v[122:123]
	v_add_f64 v[70:71], v[100:101], v[70:71]
	v_fma_f64 v[100:101], v[28:29], s[4:5], v[72:73]
	v_mul_f64 v[114:115], v[68:69], s[30:31]
	v_fma_f64 v[102:103], v[38:39], s[6:7], -v[104:105]
	v_add_f64 v[20:21], v[24:25], v[20:21]
	v_mul_f64 v[24:25], v[34:35], s[16:17]
	v_mul_f64 v[34:35], v[34:35], s[20:21]
	v_add_f64 v[12:13], v[82:83], v[66:67]
	v_fma_f64 v[66:67], v[28:29], s[24:25], -v[122:123]
	v_fma_f64 v[28:29], v[28:29], s[4:5], -v[72:73]
	v_add_f64 v[18:19], v[112:113], v[18:19]
	v_add_f64 v[16:17], v[116:117], v[16:17]
	;; [unrolled: 1-line block ×3, first 2 shown]
	v_mul_f64 v[72:73], v[61:62], s[22:23]
	v_mul_f64 v[116:117], v[74:75], s[30:31]
	v_fma_f64 v[118:119], v[38:39], s[24:25], -v[76:77]
	v_mul_f64 v[68:69], v[68:69], s[18:19]
	v_mul_f64 v[74:75], v[74:75], s[18:19]
	v_fma_f64 v[104:105], v[38:39], s[6:7], v[104:105]
	v_fma_f64 v[38:39], v[38:39], s[24:25], v[76:77]
	v_mul_f64 v[61:62], v[61:62], s[16:17]
	v_add_f64 v[82:83], v[4:5], v[92:93]
	v_add_f64 v[92:93], v[6:7], v[98:99]
	;; [unrolled: 1-line block ×5, first 2 shown]
	v_fma_f64 v[102:103], v[40:41], s[0:1], -v[114:115]
	v_fma_f64 v[112:113], v[32:33], s[6:7], v[24:25]
	v_fma_f64 v[122:123], v[32:33], s[24:25], v[34:35]
	v_fma_f64 v[24:25], v[32:33], s[6:7], -v[24:25]
	v_add_f64 v[66:67], v[4:5], v[66:67]
	v_add_f64 v[4:5], v[4:5], v[28:29]
	v_fma_f64 v[32:33], v[32:33], s[24:25], -v[34:35]
	v_mul_f64 v[100:101], v[63:64], s[22:23]
	v_fma_f64 v[34:35], v[40:41], s[24:25], v[94:95]
	v_fma_f64 v[28:29], v[59:60], s[4:5], -v[72:73]
	v_mul_f64 v[94:95], v[63:64], s[28:29]
	v_mul_f64 v[63:64], v[63:64], s[16:17]
	;; [unrolled: 1-line block ×3, first 2 shown]
	v_add_f64 v[14:15], v[96:97], v[14:15]
	v_add_f64 v[30:31], v[104:105], v[30:31]
	v_fma_f64 v[104:105], v[36:37], s[0:1], -v[116:117]
	v_mul_f64 v[96:97], v[53:54], s[14:15]
	v_fma_f64 v[72:73], v[59:60], s[4:5], v[72:73]
	v_add_f64 v[92:93], v[118:119], v[92:93]
	v_fma_f64 v[118:119], v[40:41], s[26:27], -v[68:69]
	v_add_f64 v[6:7], v[38:39], v[6:7]
	v_add_f64 v[86:87], v[124:125], v[86:87]
	v_add_f64 v[22:23], v[102:103], v[22:23]
	v_fma_f64 v[102:103], v[59:60], s[26:27], -v[108:109]
	v_add_f64 v[82:83], v[112:113], v[82:83]
	v_fma_f64 v[112:113], v[36:37], s[0:1], v[116:117]
	v_add_f64 v[98:99], v[122:123], v[98:99]
	v_fma_f64 v[122:123], v[36:37], s[26:27], v[74:75]
	;; [unrolled: 2-line block ×3, first 2 shown]
	v_fma_f64 v[40:41], v[40:41], s[26:27], v[68:69]
	v_fma_f64 v[36:37], v[36:37], s[26:27], -v[74:75]
	v_add_f64 v[4:5], v[32:33], v[4:5]
	v_add_f64 v[28:29], v[28:29], v[78:79]
	v_mul_f64 v[74:75], v[53:54], s[16:17]
	v_mul_f64 v[32:33], v[55:56], s[16:17]
	v_add_f64 v[34:35], v[34:35], v[90:91]
	v_fma_f64 v[90:91], v[57:58], s[26:27], v[94:95]
	v_mul_f64 v[53:54], v[53:54], s[8:9]
	v_fma_f64 v[120:121], v[57:58], s[4:5], v[100:101]
	v_fma_f64 v[100:101], v[57:58], s[4:5], -v[100:101]
	v_fma_f64 v[38:39], v[51:52], s[26:27], v[76:77]
	v_fma_f64 v[76:77], v[51:52], s[26:27], -v[76:77]
	v_add_f64 v[78:79], v[102:103], v[22:23]
	v_fma_f64 v[102:103], v[59:60], s[26:27], v[108:109]
	v_add_f64 v[22:23], v[112:113], v[82:83]
	v_add_f64 v[82:83], v[118:119], v[92:93]
	;; [unrolled: 1-line block ×3, first 2 shown]
	v_mul_f64 v[92:93], v[55:56], s[18:19]
	v_add_f64 v[30:31], v[66:67], v[30:31]
	v_fma_f64 v[66:67], v[59:60], s[6:7], -v[61:62]
	v_fma_f64 v[98:99], v[57:58], s[6:7], v[63:64]
	v_fma_f64 v[59:60], v[59:60], s[6:7], v[61:62]
	v_mul_f64 v[61:62], v[55:56], s[14:15]
	v_mul_f64 v[55:56], v[55:56], s[8:9]
	v_add_f64 v[24:25], v[104:105], v[24:25]
	v_add_f64 v[6:7], v[40:41], v[6:7]
	v_fma_f64 v[40:41], v[57:58], s[26:27], -v[94:95]
	v_fma_f64 v[57:58], v[57:58], s[6:7], -v[63:64]
	v_add_f64 v[4:5], v[36:37], v[4:5]
	v_fma_f64 v[104:105], v[51:52], s[0:1], -v[53:54]
	v_fma_f64 v[63:64], v[51:52], s[24:25], v[84:85]
	v_fma_f64 v[84:85], v[51:52], s[24:25], -v[84:85]
	v_add_f64 v[34:35], v[72:73], v[34:35]
	v_add_f64 v[42:43], v[120:121], v[42:43]
	v_fma_f64 v[36:37], v[49:50], s[24:25], -v[88:89]
	v_fma_f64 v[88:89], v[49:50], s[24:25], v[88:89]
	v_add_f64 v[90:91], v[90:91], v[22:23]
	v_fma_f64 v[22:23], v[51:52], s[6:7], -v[74:75]
	v_add_f64 v[100:101], v[100:101], v[14:15]
	v_fma_f64 v[94:95], v[49:50], s[26:27], -v[92:93]
	v_fma_f64 v[92:93], v[49:50], s[26:27], v[92:93]
	v_add_f64 v[66:67], v[66:67], v[82:83]
	v_add_f64 v[68:69], v[98:99], v[68:69]
	v_fma_f64 v[98:99], v[51:52], s[4:5], -v[96:97]
	v_fma_f64 v[72:73], v[49:50], s[4:5], v[61:62]
	v_fma_f64 v[106:107], v[49:50], s[0:1], v[55:56]
	;; [unrolled: 1-line block ×4, first 2 shown]
	v_fma_f64 v[32:33], v[49:50], s[6:7], -v[32:33]
	v_add_f64 v[102:103], v[102:103], v[30:31]
	v_add_f64 v[40:41], v[40:41], v[24:25]
	v_fma_f64 v[96:97], v[51:52], s[4:5], v[96:97]
	v_fma_f64 v[51:52], v[51:52], s[0:1], v[53:54]
	v_add_f64 v[53:54], v[59:60], v[6:7]
	v_fma_f64 v[59:60], v[49:50], s[4:5], -v[61:62]
	v_fma_f64 v[49:50], v[49:50], s[0:1], -v[55:56]
	v_add_f64 v[55:56], v[57:58], v[4:5]
	v_add_f64 v[14:15], v[63:64], v[18:19]
	;; [unrolled: 1-line block ×21, first 2 shown]
	v_mad_u32_u24 v49, 0xa0, v48, v65
	ds_write_b128 v49, v[0:3]
	ds_write_b128 v49, v[28:31] offset:16
	ds_write_b128 v49, v[24:27] offset:32
	;; [unrolled: 1-line block ×10, first 2 shown]
.LBB0_21:
	s_or_b32 exec_lo, exec_lo, s33
	v_and_b32_e32 v0, 0xff, v48
	s_waitcnt lgkmcnt(0)
	s_barrier
	buffer_gl0_inv
	s_mov_b32 s8, 0x134454ff
	v_mul_lo_u16 v0, 0x75, v0
	s_mov_b32 s9, 0xbfee6f0e
	s_mov_b32 s15, 0x3fee6f0e
	;; [unrolled: 1-line block ×4, first 2 shown]
	v_lshrrev_b16 v0, 8, v0
	s_mov_b32 s7, 0xbfe2cf23
	s_mov_b32 s17, 0x3fe2cf23
	s_mov_b32 s16, s6
	s_mov_b32 s4, 0x372fe950
	v_sub_nc_u16 v1, v48, v0
	s_mov_b32 s5, 0x3fd3c6ef
	s_mov_b32 s0, 0x9b97f4a8
	;; [unrolled: 1-line block ×4, first 2 shown]
	v_lshrrev_b16 v1, 1, v1
	s_mov_b32 s18, s4
	s_mov_b32 s21, 0xbfe9e377
	;; [unrolled: 1-line block ×3, first 2 shown]
	v_and_b32_e32 v1, 0x7f, v1
	v_add_nc_u16 v0, v1, v0
	v_mov_b32_e32 v1, 9
	v_lshrrev_b16 v2, 3, v0
	v_mul_lo_u16 v0, v2, 11
	v_sub_nc_u16 v3, v48, v0
	v_mul_u32_u24_sdwa v0, v3, v1 dst_sel:DWORD dst_unused:UNUSED_PAD src0_sel:BYTE_0 src1_sel:DWORD
	v_lshlrev_b32_e32 v0, 4, v0
	s_clause 0x8
	global_load_dwordx4 v[4:7], v0, s[12:13] offset:32
	global_load_dwordx4 v[8:11], v0, s[12:13] offset:64
	;; [unrolled: 1-line block ×4, first 2 shown]
	global_load_dwordx4 v[20:23], v0, s[12:13]
	global_load_dwordx4 v[24:27], v0, s[12:13] offset:16
	global_load_dwordx4 v[28:31], v0, s[12:13] offset:48
	;; [unrolled: 1-line block ×4, first 2 shown]
	ds_read_b128 v[40:43], v65 offset:2640
	ds_read_b128 v[49:52], v65 offset:4400
	;; [unrolled: 1-line block ×9, first 2 shown]
	ds_read_b128 v[82:85], v65
	s_waitcnt vmcnt(0) lgkmcnt(0)
	s_barrier
	buffer_gl0_inv
	v_mul_f64 v[0:1], v[40:41], v[6:7]
	v_mul_f64 v[86:87], v[49:50], v[10:11]
	;; [unrolled: 1-line block ×18, first 2 shown]
	v_fma_f64 v[0:1], v[42:43], v[4:5], -v[0:1]
	v_fma_f64 v[42:43], v[51:52], v[8:9], -v[86:87]
	;; [unrolled: 1-line block ×4, first 2 shown]
	v_fma_f64 v[4:5], v[40:41], v[4:5], v[6:7]
	v_fma_f64 v[8:9], v[49:50], v[8:9], v[10:11]
	v_fma_f64 v[12:13], v[53:54], v[12:13], v[14:15]
	v_fma_f64 v[14:15], v[57:58], v[16:17], v[18:19]
	v_fma_f64 v[16:17], v[63:64], v[20:21], -v[92:93]
	v_fma_f64 v[59:60], v[66:67], v[24:25], v[94:95]
	v_fma_f64 v[24:25], v[68:69], v[24:25], -v[26:27]
	v_fma_f64 v[6:7], v[70:71], v[28:29], v[96:97]
	;; [unrolled: 2-line block ×3, first 2 shown]
	v_fma_f64 v[32:33], v[76:77], v[32:33], -v[34:35]
	v_fma_f64 v[30:31], v[80:81], v[36:37], -v[100:101]
	v_fma_f64 v[10:11], v[78:79], v[36:37], v[38:39]
	v_fma_f64 v[20:21], v[61:62], v[20:21], v[22:23]
	v_add_f64 v[92:93], v[0:1], -v[42:43]
	v_add_f64 v[18:19], v[42:43], v[51:52]
	v_add_f64 v[34:35], v[0:1], v[55:56]
	v_add_f64 v[90:91], v[0:1], -v[55:56]
	v_add_f64 v[94:95], v[55:56], -v[51:52]
	;; [unrolled: 1-line block ×3, first 2 shown]
	v_add_f64 v[57:58], v[8:9], v[12:13]
	v_add_f64 v[61:62], v[4:5], v[14:15]
	v_add_f64 v[63:64], v[4:5], -v[14:15]
	v_add_f64 v[66:67], v[8:9], -v[12:13]
	v_add_f64 v[22:23], v[82:83], v[59:60]
	v_add_f64 v[49:50], v[59:60], -v[6:7]
	v_add_f64 v[96:97], v[42:43], -v[0:1]
	v_add_f64 v[36:37], v[6:7], v[28:29]
	v_add_f64 v[76:77], v[26:27], v[32:33]
	;; [unrolled: 1-line block ×3, first 2 shown]
	v_add_f64 v[53:54], v[10:11], -v[28:29]
	v_add_f64 v[68:69], v[59:60], v[10:11]
	v_add_f64 v[98:99], v[51:52], -v[55:56]
	v_add_f64 v[74:75], v[84:85], v[24:25]
	v_add_f64 v[0:1], v[16:17], v[0:1]
	v_add_f64 v[38:39], v[24:25], -v[30:31]
	v_add_f64 v[40:41], v[26:27], -v[32:33]
	v_fma_f64 v[18:19], v[18:19], -0.5, v[16:17]
	v_fma_f64 v[34:35], v[34:35], -0.5, v[16:17]
	v_add_f64 v[70:71], v[6:7], -v[59:60]
	v_add_f64 v[72:73], v[28:29], -v[10:11]
	;; [unrolled: 1-line block ×3, first 2 shown]
	v_fma_f64 v[57:58], v[57:58], -0.5, v[20:21]
	v_fma_f64 v[61:62], v[61:62], -0.5, v[20:21]
	v_add_f64 v[20:21], v[20:21], v[4:5]
	v_add_f64 v[78:79], v[6:7], -v[28:29]
	v_add_f64 v[108:109], v[4:5], -v[8:9]
	;; [unrolled: 1-line block ×3, first 2 shown]
	v_add_f64 v[6:7], v[22:23], v[6:7]
	v_fma_f64 v[16:17], v[36:37], -0.5, v[82:83]
	v_add_f64 v[4:5], v[8:9], -v[4:5]
	v_add_f64 v[112:113], v[12:13], -v[14:15]
	v_add_f64 v[36:37], v[49:50], v[53:54]
	v_fma_f64 v[22:23], v[68:69], -0.5, v[82:83]
	v_fma_f64 v[49:50], v[76:77], -0.5, v[84:85]
	;; [unrolled: 1-line block ×3, first 2 shown]
	v_add_f64 v[68:69], v[92:93], v[94:95]
	v_add_f64 v[76:77], v[96:97], v[98:99]
	v_add_f64 v[80:81], v[24:25], -v[26:27]
	v_fma_f64 v[104:105], v[63:64], s[14:15], v[18:19]
	v_fma_f64 v[106:107], v[66:67], s[8:9], v[34:35]
	;; [unrolled: 1-line block ×4, first 2 shown]
	v_add_f64 v[24:25], v[26:27], -v[24:25]
	v_fma_f64 v[82:83], v[90:91], s[8:9], v[57:58]
	v_fma_f64 v[84:85], v[100:101], s[14:15], v[61:62]
	v_fma_f64 v[57:58], v[90:91], s[14:15], v[57:58]
	v_fma_f64 v[61:62], v[100:101], s[8:9], v[61:62]
	v_add_f64 v[26:27], v[74:75], v[26:27]
	v_add_f64 v[8:9], v[20:21], v[8:9]
	;; [unrolled: 1-line block ×3, first 2 shown]
	v_add_f64 v[86:87], v[30:31], -v[32:33]
	v_add_f64 v[20:21], v[108:109], v[110:111]
	v_fma_f64 v[42:43], v[38:39], s[8:9], v[16:17]
	v_add_f64 v[102:103], v[32:33], -v[30:31]
	v_add_f64 v[4:5], v[4:5], v[112:113]
	v_fma_f64 v[16:17], v[38:39], s[14:15], v[16:17]
	v_add_f64 v[6:7], v[6:7], v[28:29]
	v_fma_f64 v[88:89], v[66:67], s[16:17], v[104:105]
	v_fma_f64 v[92:93], v[63:64], s[16:17], v[106:107]
	;; [unrolled: 1-line block ×4, first 2 shown]
	v_add_f64 v[63:64], v[70:71], v[72:73]
	v_fma_f64 v[66:67], v[40:41], s[14:15], v[22:23]
	v_fma_f64 v[22:23], v[40:41], s[8:9], v[22:23]
	;; [unrolled: 1-line block ×10, first 2 shown]
	v_add_f64 v[26:27], v[26:27], v[32:33]
	v_add_f64 v[8:9], v[8:9], v[12:13]
	;; [unrolled: 1-line block ×3, first 2 shown]
	v_fma_f64 v[12:13], v[40:41], s[6:7], v[42:43]
	v_add_f64 v[24:25], v[24:25], v[102:103]
	v_fma_f64 v[16:17], v[40:41], s[16:17], v[16:17]
	v_add_f64 v[6:7], v[6:7], v[10:11]
	v_fma_f64 v[84:85], v[68:69], s[4:5], v[88:89]
	v_fma_f64 v[88:89], v[76:77], s[4:5], v[92:93]
	v_fma_f64 v[34:35], v[76:77], s[4:5], v[34:35]
	v_fma_f64 v[18:19], v[68:69], s[4:5], v[18:19]
	v_add_f64 v[68:69], v[80:81], v[86:87]
	v_fma_f64 v[28:29], v[38:39], s[6:7], v[66:67]
	v_fma_f64 v[22:23], v[38:39], s[16:17], v[22:23]
	;; [unrolled: 1-line block ×10, first 2 shown]
	v_add_f64 v[10:11], v[26:27], v[30:31]
	v_add_f64 v[8:9], v[8:9], v[14:15]
	;; [unrolled: 1-line block ×3, first 2 shown]
	v_fma_f64 v[26:27], v[36:37], s[4:5], v[12:13]
	v_lshlrev_b32_e32 v0, 2, v48
	v_fma_f64 v[36:37], v[36:37], s[4:5], v[16:17]
	v_mov_b32_e32 v1, 0
	v_mul_f64 v[53:54], v[84:85], s[6:7]
	v_mul_f64 v[66:67], v[84:85], s[0:1]
	;; [unrolled: 1-line block ×8, first 2 shown]
	v_fma_f64 v[32:33], v[68:69], s[4:5], v[32:33]
	v_fma_f64 v[28:29], v[63:64], s[4:5], v[28:29]
	;; [unrolled: 1-line block ×14, first 2 shown]
	v_mov_b32_e32 v4, 0x6e0
	v_mov_b32_e32 v5, 4
	v_mul_u32_u24_sdwa v66, v2, v4 dst_sel:DWORD dst_unused:UNUSED_PAD src0_sel:WORD_0 src1_sel:DWORD
	v_lshlrev_b32_sdwa v67, v5, v3 dst_sel:DWORD dst_unused:UNUSED_PAD src0_sel:DWORD src1_sel:BYTE_0
	v_add_f64 v[2:3], v[6:7], v[8:9]
	v_add_f64 v[4:5], v[10:11], v[14:15]
	v_add_f64 v[6:7], v[6:7], -v[8:9]
	v_add_f64 v[8:9], v[10:11], -v[14:15]
	v_add_f64 v[10:11], v[26:27], v[30:31]
	v_add_f64 v[12:13], v[32:33], v[49:50]
	v_add_f64 v[14:15], v[28:29], v[38:39]
	v_add_f64 v[16:17], v[40:41], v[51:52]
	v_add_f64 v[18:19], v[55:56], v[53:54]
	v_add_f64 v[20:21], v[42:43], v[59:60]
	v_add_f64 v[22:23], v[36:37], v[57:58]
	v_add_f64 v[24:25], v[63:64], v[61:62]
	v_add_f64 v[26:27], v[26:27], -v[30:31]
	v_add_f64 v[30:31], v[28:29], -v[38:39]
	;; [unrolled: 1-line block ×8, first 2 shown]
	v_lshlrev_b64 v[42:43], 4, v[0:1]
	v_add_nc_u32_e32 v0, 0xdc, v0
	v_add3_u32 v49, 0, v66, v67
	ds_write_b128 v49, v[2:5]
	ds_write_b128 v49, v[6:9] offset:880
	ds_write_b128 v49, v[10:13] offset:176
	ds_write_b128 v49, v[14:17] offset:352
	ds_write_b128 v49, v[18:21] offset:528
	ds_write_b128 v49, v[22:25] offset:704
	ds_write_b128 v49, v[26:29] offset:1056
	ds_write_b128 v49, v[30:33] offset:1232
	ds_write_b128 v49, v[34:37] offset:1408
	ds_write_b128 v49, v[38:41] offset:1584
	v_lshlrev_b64 v[18:19], 4, v[0:1]
	v_add_co_u32 v42, s0, s12, v42
	v_add_co_ci_u32_e64 v43, s0, s13, v43, s0
	s_waitcnt lgkmcnt(0)
	v_add_co_u32 v30, s0, s12, v18
	s_barrier
	buffer_gl0_inv
	global_load_dwordx4 v[2:5], v[42:43], off offset:1584
	v_add_co_ci_u32_e64 v31, s0, s13, v19, s0
	s_clause 0x6
	global_load_dwordx4 v[6:9], v[42:43], off offset:1600
	global_load_dwordx4 v[10:13], v[42:43], off offset:1616
	;; [unrolled: 1-line block ×7, first 2 shown]
	ds_read_b128 v[34:37], v65 offset:1760
	ds_read_b128 v[38:41], v65 offset:3520
	;; [unrolled: 1-line block ×8, first 2 shown]
	s_waitcnt vmcnt(7) lgkmcnt(7)
	v_mul_f64 v[42:43], v[36:37], v[4:5]
	s_waitcnt vmcnt(6) lgkmcnt(6)
	v_mul_f64 v[74:75], v[40:41], v[8:9]
	v_mul_f64 v[8:9], v[38:39], v[8:9]
	s_waitcnt vmcnt(5) lgkmcnt(5)
	v_mul_f64 v[76:77], v[51:52], v[12:13]
	v_mul_f64 v[12:13], v[49:50], v[12:13]
	;; [unrolled: 1-line block ×3, first 2 shown]
	s_waitcnt vmcnt(4) lgkmcnt(4)
	v_mul_f64 v[78:79], v[53:54], v[16:17]
	v_mul_f64 v[16:17], v[55:56], v[16:17]
	s_waitcnt vmcnt(3) lgkmcnt(3)
	v_mul_f64 v[80:81], v[59:60], v[20:21]
	v_mul_f64 v[20:21], v[57:58], v[20:21]
	;; [unrolled: 3-line block ×5, first 2 shown]
	v_fma_f64 v[34:35], v[34:35], v[2:3], v[42:43]
	v_fma_f64 v[38:39], v[38:39], v[6:7], v[74:75]
	v_fma_f64 v[40:41], v[40:41], v[6:7], -v[8:9]
	v_fma_f64 v[42:43], v[49:50], v[10:11], v[76:77]
	v_fma_f64 v[10:11], v[51:52], v[10:11], -v[12:13]
	v_fma_f64 v[36:37], v[36:37], v[2:3], -v[4:5]
	;; [unrolled: 1-line block ×3, first 2 shown]
	v_fma_f64 v[12:13], v[53:54], v[14:15], v[16:17]
	v_fma_f64 v[14:15], v[57:58], v[18:19], v[80:81]
	v_fma_f64 v[16:17], v[59:60], v[18:19], -v[20:21]
	v_fma_f64 v[18:19], v[61:62], v[22:23], v[82:83]
	v_fma_f64 v[20:21], v[63:64], v[22:23], -v[24:25]
	;; [unrolled: 2-line block ×4, first 2 shown]
	ds_read_b128 v[2:5], v65
	ds_read_b128 v[6:9], v65 offset:880
	s_waitcnt lgkmcnt(0)
	s_barrier
	buffer_gl0_inv
	v_add_f64 v[55:56], v[34:35], -v[38:39]
	v_add_f64 v[61:62], v[38:39], -v[34:35]
	v_add_f64 v[32:33], v[38:39], v[42:43]
	v_add_f64 v[68:69], v[40:41], v[10:11]
	v_add_f64 v[72:73], v[36:37], -v[40:41]
	v_add_f64 v[76:77], v[36:37], v[49:50]
	v_add_f64 v[59:60], v[34:35], v[12:13]
	v_add_f64 v[57:58], v[12:13], -v[42:43]
	v_add_f64 v[51:52], v[36:37], -v[49:50]
	;; [unrolled: 1-line block ×4, first 2 shown]
	v_add_f64 v[80:81], v[18:19], v[22:23]
	v_add_f64 v[88:89], v[20:21], v[24:25]
	;; [unrolled: 1-line block ×8, first 2 shown]
	v_add_f64 v[34:35], v[34:35], -v[12:13]
	v_add_f64 v[36:37], v[40:41], -v[36:37]
	;; [unrolled: 1-line block ×5, first 2 shown]
	v_fma_f64 v[32:33], v[32:33], -0.5, v[2:3]
	v_fma_f64 v[68:69], v[68:69], -0.5, v[4:5]
	v_add_f64 v[86:87], v[16:17], -v[28:29]
	v_fma_f64 v[4:5], v[76:77], -0.5, v[4:5]
	v_fma_f64 v[2:3], v[59:60], -0.5, v[2:3]
	v_add_f64 v[94:95], v[14:15], -v[18:19]
	v_add_f64 v[98:99], v[18:19], -v[14:15]
	;; [unrolled: 1-line block ×4, first 2 shown]
	v_fma_f64 v[80:81], v[80:81], -0.5, v[6:7]
	v_add_f64 v[96:97], v[26:27], -v[22:23]
	v_add_f64 v[30:31], v[30:31], v[38:39]
	v_add_f64 v[38:39], v[55:56], v[57:58]
	v_fma_f64 v[55:56], v[88:89], -0.5, v[8:9]
	v_add_f64 v[104:105], v[18:19], -v[22:23]
	v_fma_f64 v[6:7], v[84:85], -0.5, v[6:7]
	v_fma_f64 v[8:9], v[90:91], -0.5, v[8:9]
	v_add_f64 v[106:107], v[16:17], -v[20:21]
	v_add_f64 v[16:17], v[20:21], -v[16:17]
	v_add_f64 v[76:77], v[24:25], -v[28:29]
	v_add_f64 v[40:41], v[66:67], v[40:41]
	v_add_f64 v[18:19], v[82:83], v[18:19]
	;; [unrolled: 1-line block ×6, first 2 shown]
	v_fma_f64 v[72:73], v[51:52], s[8:9], v[32:33]
	v_fma_f64 v[78:79], v[34:35], s[14:15], v[68:69]
	;; [unrolled: 1-line block ×8, first 2 shown]
	v_add_f64 v[59:60], v[28:29], -v[24:25]
	v_fma_f64 v[84:85], v[86:87], s[8:9], v[80:81]
	v_fma_f64 v[90:91], v[14:15], s[14:15], v[55:56]
	v_add_f64 v[100:101], v[22:23], -v[26:27]
	v_add_f64 v[63:64], v[94:95], v[96:97]
	v_fma_f64 v[88:89], v[92:93], s[14:15], v[6:7]
	v_fma_f64 v[94:95], v[104:105], s[8:9], v[8:9]
	;; [unrolled: 1-line block ×6, first 2 shown]
	v_add_f64 v[76:77], v[16:17], v[76:77]
	v_add_f64 v[16:17], v[30:31], v[42:43]
	;; [unrolled: 1-line block ×5, first 2 shown]
	v_fma_f64 v[22:23], v[53:54], s[6:7], v[72:73]
	v_fma_f64 v[40:41], v[70:71], s[16:17], v[78:79]
	;; [unrolled: 1-line block ×8, first 2 shown]
	v_add_f64 v[59:60], v[106:107], v[59:60]
	v_fma_f64 v[53:54], v[92:93], s[6:7], v[84:85]
	v_fma_f64 v[74:75], v[104:105], s[16:17], v[90:91]
	v_add_f64 v[66:67], v[98:99], v[100:101]
	v_fma_f64 v[70:71], v[86:87], s[6:7], v[88:89]
	v_fma_f64 v[78:79], v[14:15], s[16:17], v[94:95]
	;; [unrolled: 1-line block ×6, first 2 shown]
	v_add_f64 v[2:3], v[16:17], v[12:13]
	v_add_f64 v[4:5], v[10:11], v[49:50]
	;; [unrolled: 1-line block ×4, first 2 shown]
	v_fma_f64 v[10:11], v[38:39], s[4:5], v[22:23]
	v_fma_f64 v[12:13], v[61:62], s[4:5], v[40:41]
	;; [unrolled: 1-line block ×16, first 2 shown]
	ds_write_b128 v65, v[2:5]
	ds_write_b128 v65, v[6:9] offset:880
	ds_write_b128 v65, v[10:13] offset:1760
	;; [unrolled: 1-line block ×9, first 2 shown]
	s_waitcnt lgkmcnt(0)
	s_barrier
	buffer_gl0_inv
	s_and_saveexec_b32 s0, vcc_lo
	s_cbranch_execz .LBB0_23
; %bb.22:
	v_mul_lo_u32 v0, s3, v46
	v_mul_lo_u32 v4, s2, v47
	v_mad_u64_u32 v[2:3], null, s2, v46, 0
	v_lshl_add_u32 v28, v48, 4, 0
	v_mov_b32_e32 v49, v1
	v_lshlrev_b64 v[10:11], 4, v[44:45]
	v_lshlrev_b64 v[14:15], 4, v[48:49]
	v_add3_u32 v3, v3, v4, v0
	v_add_nc_u32_e32 v0, 55, v48
	v_lshlrev_b64 v[12:13], 4, v[2:3]
	ds_read_b128 v[2:5], v28
	ds_read_b128 v[6:9], v28 offset:880
	v_add_co_u32 v16, vcc_lo, s10, v12
	v_add_co_ci_u32_e32 v17, vcc_lo, s11, v13, vcc_lo
	v_lshlrev_b64 v[12:13], 4, v[0:1]
	v_add_co_u32 v30, vcc_lo, v16, v10
	v_add_co_ci_u32_e32 v31, vcc_lo, v17, v11, vcc_lo
	v_add_nc_u32_e32 v0, 0x6e, v48
	v_add_co_u32 v10, vcc_lo, v30, v14
	v_add_co_ci_u32_e32 v11, vcc_lo, v31, v15, vcc_lo
	v_add_co_u32 v12, vcc_lo, v30, v12
	v_add_co_ci_u32_e32 v13, vcc_lo, v31, v13, vcc_lo
	s_waitcnt lgkmcnt(1)
	global_store_dwordx4 v[10:11], v[2:5], off
	s_waitcnt lgkmcnt(0)
	global_store_dwordx4 v[12:13], v[6:9], off
	v_lshlrev_b64 v[14:15], 4, v[0:1]
	v_add_nc_u32_e32 v0, 0xa5, v48
	ds_read_b128 v[2:5], v28 offset:1760
	ds_read_b128 v[6:9], v28 offset:2640
	;; [unrolled: 1-line block ×3, first 2 shown]
	v_lshlrev_b64 v[16:17], 4, v[0:1]
	v_add_nc_u32_e32 v0, 0xdc, v48
	v_add_co_u32 v14, vcc_lo, v30, v14
	v_add_co_ci_u32_e32 v15, vcc_lo, v31, v15, vcc_lo
	v_lshlrev_b64 v[18:19], 4, v[0:1]
	v_add_nc_u32_e32 v0, 0x113, v48
	v_add_co_u32 v16, vcc_lo, v30, v16
	v_add_co_ci_u32_e32 v17, vcc_lo, v31, v17, vcc_lo
	v_lshlrev_b64 v[20:21], 4, v[0:1]
	v_add_nc_u32_e32 v0, 0x14a, v48
	v_add_co_u32 v18, vcc_lo, v30, v18
	s_waitcnt lgkmcnt(2)
	global_store_dwordx4 v[14:15], v[2:5], off
	s_waitcnt lgkmcnt(1)
	global_store_dwordx4 v[16:17], v[6:9], off
	v_add_co_ci_u32_e32 v19, vcc_lo, v31, v19, vcc_lo
	v_lshlrev_b64 v[6:7], 4, v[0:1]
	v_add_co_u32 v22, vcc_lo, v30, v20
	v_add_nc_u32_e32 v0, 0x181, v48
	v_add_co_ci_u32_e32 v23, vcc_lo, v31, v21, vcc_lo
	v_add_co_u32 v24, vcc_lo, v30, v6
	s_waitcnt lgkmcnt(0)
	global_store_dwordx4 v[18:19], v[10:13], off
	ds_read_b128 v[2:5], v28 offset:4400
	v_add_co_ci_u32_e32 v25, vcc_lo, v31, v7, vcc_lo
	ds_read_b128 v[6:9], v28 offset:5280
	ds_read_b128 v[10:13], v28 offset:6160
	;; [unrolled: 1-line block ×4, first 2 shown]
	v_lshlrev_b64 v[26:27], 4, v[0:1]
	v_add_nc_u32_e32 v0, 0x1b8, v48
	v_lshlrev_b64 v[28:29], 4, v[0:1]
	v_add_nc_u32_e32 v0, 0x1ef, v48
	v_add_co_u32 v26, vcc_lo, v30, v26
	v_add_co_ci_u32_e32 v27, vcc_lo, v31, v27, vcc_lo
	v_lshlrev_b64 v[0:1], 4, v[0:1]
	v_add_co_u32 v28, vcc_lo, v30, v28
	v_add_co_ci_u32_e32 v29, vcc_lo, v31, v29, vcc_lo
	v_add_co_u32 v0, vcc_lo, v30, v0
	v_add_co_ci_u32_e32 v1, vcc_lo, v31, v1, vcc_lo
	s_waitcnt lgkmcnt(4)
	global_store_dwordx4 v[22:23], v[2:5], off
	s_waitcnt lgkmcnt(3)
	global_store_dwordx4 v[24:25], v[6:9], off
	;; [unrolled: 2-line block ×5, first 2 shown]
.LBB0_23:
	s_endpgm
	.section	.rodata,"a",@progbits
	.p2align	6, 0x0
	.amdhsa_kernel fft_rtc_back_len550_factors_11_10_5_wgs_55_tpt_55_dp_op_CI_CI_unitstride_sbrr_C2R_dirReg
		.amdhsa_group_segment_fixed_size 0
		.amdhsa_private_segment_fixed_size 0
		.amdhsa_kernarg_size 104
		.amdhsa_user_sgpr_count 6
		.amdhsa_user_sgpr_private_segment_buffer 1
		.amdhsa_user_sgpr_dispatch_ptr 0
		.amdhsa_user_sgpr_queue_ptr 0
		.amdhsa_user_sgpr_kernarg_segment_ptr 1
		.amdhsa_user_sgpr_dispatch_id 0
		.amdhsa_user_sgpr_flat_scratch_init 0
		.amdhsa_user_sgpr_private_segment_size 0
		.amdhsa_wavefront_size32 1
		.amdhsa_uses_dynamic_stack 0
		.amdhsa_system_sgpr_private_segment_wavefront_offset 0
		.amdhsa_system_sgpr_workgroup_id_x 1
		.amdhsa_system_sgpr_workgroup_id_y 0
		.amdhsa_system_sgpr_workgroup_id_z 0
		.amdhsa_system_sgpr_workgroup_info 0
		.amdhsa_system_vgpr_workitem_id 0
		.amdhsa_next_free_vgpr 126
		.amdhsa_next_free_sgpr 34
		.amdhsa_reserve_vcc 1
		.amdhsa_reserve_flat_scratch 0
		.amdhsa_float_round_mode_32 0
		.amdhsa_float_round_mode_16_64 0
		.amdhsa_float_denorm_mode_32 3
		.amdhsa_float_denorm_mode_16_64 3
		.amdhsa_dx10_clamp 1
		.amdhsa_ieee_mode 1
		.amdhsa_fp16_overflow 0
		.amdhsa_workgroup_processor_mode 1
		.amdhsa_memory_ordered 1
		.amdhsa_forward_progress 0
		.amdhsa_shared_vgpr_count 0
		.amdhsa_exception_fp_ieee_invalid_op 0
		.amdhsa_exception_fp_denorm_src 0
		.amdhsa_exception_fp_ieee_div_zero 0
		.amdhsa_exception_fp_ieee_overflow 0
		.amdhsa_exception_fp_ieee_underflow 0
		.amdhsa_exception_fp_ieee_inexact 0
		.amdhsa_exception_int_div_zero 0
	.end_amdhsa_kernel
	.text
.Lfunc_end0:
	.size	fft_rtc_back_len550_factors_11_10_5_wgs_55_tpt_55_dp_op_CI_CI_unitstride_sbrr_C2R_dirReg, .Lfunc_end0-fft_rtc_back_len550_factors_11_10_5_wgs_55_tpt_55_dp_op_CI_CI_unitstride_sbrr_C2R_dirReg
                                        ; -- End function
	.section	.AMDGPU.csdata,"",@progbits
; Kernel info:
; codeLenInByte = 9460
; NumSgprs: 36
; NumVgprs: 126
; ScratchSize: 0
; MemoryBound: 0
; FloatMode: 240
; IeeeMode: 1
; LDSByteSize: 0 bytes/workgroup (compile time only)
; SGPRBlocks: 4
; VGPRBlocks: 15
; NumSGPRsForWavesPerEU: 36
; NumVGPRsForWavesPerEU: 126
; Occupancy: 8
; WaveLimiterHint : 1
; COMPUTE_PGM_RSRC2:SCRATCH_EN: 0
; COMPUTE_PGM_RSRC2:USER_SGPR: 6
; COMPUTE_PGM_RSRC2:TRAP_HANDLER: 0
; COMPUTE_PGM_RSRC2:TGID_X_EN: 1
; COMPUTE_PGM_RSRC2:TGID_Y_EN: 0
; COMPUTE_PGM_RSRC2:TGID_Z_EN: 0
; COMPUTE_PGM_RSRC2:TIDIG_COMP_CNT: 0
	.text
	.p2alignl 6, 3214868480
	.fill 48, 4, 3214868480
	.type	__hip_cuid_f61e62c180b9480,@object ; @__hip_cuid_f61e62c180b9480
	.section	.bss,"aw",@nobits
	.globl	__hip_cuid_f61e62c180b9480
__hip_cuid_f61e62c180b9480:
	.byte	0                               ; 0x0
	.size	__hip_cuid_f61e62c180b9480, 1

	.ident	"AMD clang version 19.0.0git (https://github.com/RadeonOpenCompute/llvm-project roc-6.4.0 25133 c7fe45cf4b819c5991fe208aaa96edf142730f1d)"
	.section	".note.GNU-stack","",@progbits
	.addrsig
	.addrsig_sym __hip_cuid_f61e62c180b9480
	.amdgpu_metadata
---
amdhsa.kernels:
  - .args:
      - .actual_access:  read_only
        .address_space:  global
        .offset:         0
        .size:           8
        .value_kind:     global_buffer
      - .offset:         8
        .size:           8
        .value_kind:     by_value
      - .actual_access:  read_only
        .address_space:  global
        .offset:         16
        .size:           8
        .value_kind:     global_buffer
      - .actual_access:  read_only
        .address_space:  global
        .offset:         24
        .size:           8
        .value_kind:     global_buffer
      - .actual_access:  read_only
        .address_space:  global
        .offset:         32
        .size:           8
        .value_kind:     global_buffer
      - .offset:         40
        .size:           8
        .value_kind:     by_value
      - .actual_access:  read_only
        .address_space:  global
        .offset:         48
        .size:           8
        .value_kind:     global_buffer
      - .actual_access:  read_only
        .address_space:  global
        .offset:         56
        .size:           8
        .value_kind:     global_buffer
      - .offset:         64
        .size:           4
        .value_kind:     by_value
      - .actual_access:  read_only
        .address_space:  global
        .offset:         72
        .size:           8
        .value_kind:     global_buffer
      - .actual_access:  read_only
        .address_space:  global
        .offset:         80
        .size:           8
        .value_kind:     global_buffer
      - .actual_access:  read_only
        .address_space:  global
        .offset:         88
        .size:           8
        .value_kind:     global_buffer
      - .actual_access:  write_only
        .address_space:  global
        .offset:         96
        .size:           8
        .value_kind:     global_buffer
    .group_segment_fixed_size: 0
    .kernarg_segment_align: 8
    .kernarg_segment_size: 104
    .language:       OpenCL C
    .language_version:
      - 2
      - 0
    .max_flat_workgroup_size: 55
    .name:           fft_rtc_back_len550_factors_11_10_5_wgs_55_tpt_55_dp_op_CI_CI_unitstride_sbrr_C2R_dirReg
    .private_segment_fixed_size: 0
    .sgpr_count:     36
    .sgpr_spill_count: 0
    .symbol:         fft_rtc_back_len550_factors_11_10_5_wgs_55_tpt_55_dp_op_CI_CI_unitstride_sbrr_C2R_dirReg.kd
    .uniform_work_group_size: 1
    .uses_dynamic_stack: false
    .vgpr_count:     126
    .vgpr_spill_count: 0
    .wavefront_size: 32
    .workgroup_processor_mode: 1
amdhsa.target:   amdgcn-amd-amdhsa--gfx1030
amdhsa.version:
  - 1
  - 2
...

	.end_amdgpu_metadata
